;; amdgpu-corpus repo=zjin-lcf/HeCBench kind=compiled arch=gfx906 opt=O3
	.amdgcn_target "amdgcn-amd-amdhsa--gfx906"
	.amdhsa_code_object_version 6
	.text
	.protected	_Z11fasten_mainmmmmPK4AtomS1_PKfS3_S3_S3_S3_S3_PK8FFParamsPf ; -- Begin function _Z11fasten_mainmmmmPK4AtomS1_PKfS3_S3_S3_S3_S3_PK8FFParamsPf
	.globl	_Z11fasten_mainmmmmPK4AtomS1_PKfS3_S3_S3_S3_S3_PK8FFParamsPf
	.p2align	8
	.type	_Z11fasten_mainmmmmPK4AtomS1_PKfS3_S3_S3_S3_S3_PK8FFParamsPf,@function
_Z11fasten_mainmmmmPK4AtomS1_PKfS3_S3_S3_S3_S3_PK8FFParamsPf: ; @_Z11fasten_mainmmmmPK4AtomS1_PKfS3_S3_S3_S3_S3_PK8FFParamsPf
; %bb.0:
	s_load_dwordx8 s[36:43], s[4:5], 0x40
	s_load_dwordx8 s[8:15], s[4:5], 0x0
	s_load_dwordx8 s[20:27], s[4:5], 0x20
	s_load_dwordx2 s[28:29], s[4:5], 0x68
	s_load_dword s7, s[4:5], 0x7c
	v_mov_b32_e32 v1, 0
	s_waitcnt lgkmcnt(0)
	v_cmp_gt_u64_e32 vcc, s[8:9], v[0:1]
	s_and_saveexec_b64 s[0:1], vcc
	s_cbranch_execz .LBB0_3
; %bb.1:
	s_load_dwordx2 s[2:3], s[4:5], 0x60
	s_and_b32 s16, 0xffff, s7
	v_mov_b32_e32 v5, v1
	v_add_u32_e32 v2, s16, v0
	v_lshl_add_u32 v6, v0, 4, 0
	s_lshl_b32 s17, s16, 4
	s_mov_b64 s[4:5], 0
	s_waitcnt lgkmcnt(0)
	v_mov_b32_e32 v7, s3
	v_mov_b32_e32 v4, v0
.LBB0_2:                                ; =>This Inner Loop Header: Depth=1
	v_lshlrev_b64 v[3:4], 4, v[4:5]
	v_add_co_u32_e32 v3, vcc, s2, v3
	v_addc_co_u32_e32 v4, vcc, v7, v4, vcc
	global_load_dwordx4 v[8:11], v[3:4], off
	v_ashrrev_i32_e32 v3, 31, v2
	v_cmp_le_u64_e32 vcc, s[8:9], v[2:3]
	v_mov_b32_e32 v5, v3
	v_mov_b32_e32 v4, v2
	v_add_u32_e32 v2, s16, v2
	s_or_b64 s[4:5], vcc, s[4:5]
	s_waitcnt vmcnt(0)
	ds_write2_b64 v6, v[8:9], v[10:11] offset1:1
	v_add_u32_e32 v6, s17, v6
	s_andn2_b64 exec, exec, s[4:5]
	s_cbranch_execnz .LBB0_2
.LBB0_3:
	s_or_b64 exec, exec, s[0:1]
	s_and_b32 s0, 0xffff, s7
	v_mov_b32_e32 v2, s6
	v_mad_u64_u32 v[4:5], s[0:1], s0, v2, v[0:1]
	s_add_u32 s2, s10, -1
	s_addc_u32 s0, s11, -1
	v_mov_b32_e32 v0, s0
	v_cmp_gt_u64_e64 s[0:1], s[10:11], v[4:5]
	v_mov_b32_e32 v3, s25
	v_cndmask_b32_e64 v1, v0, v5, s[0:1]
	v_mov_b32_e32 v0, s2
	v_cndmask_b32_e64 v0, v0, v4, s[0:1]
	v_lshlrev_b64 v[0:1], 2, v[0:1]
	v_mov_b32_e32 v7, 0
	v_add_co_u32_e32 v2, vcc, s24, v0
	v_addc_co_u32_e32 v3, vcc, v3, v1, vcc
	global_load_dword v14, v[2:3], off
	v_mov_b32_e32 v3, s27
	v_add_co_u32_e32 v2, vcc, s26, v0
	v_addc_co_u32_e32 v3, vcc, v3, v1, vcc
	global_load_dword v12, v[2:3], off
	s_mov_b32 s26, 0xfe5163ab
	s_mov_b32 s25, 0x3c439041
	;; [unrolled: 1-line block ×3, first 2 shown]
	v_not_b32_e32 v17, 63
	s_mov_b32 s24, 0xdb629599
	v_not_b32_e32 v16, 31
	s_mov_b32 s19, 0xf534ddc0
	s_mov_b32 s18, 0xfc2757d1
	;; [unrolled: 1-line block ×6, first 2 shown]
	s_brev_b32 s8, 18
	s_mov_b64 s[34:35], 0
	s_movk_i32 s33, 0x46
	s_waitcnt vmcnt(1)
	v_and_b32_e32 v20, 0x7fffffff, v14
	v_and_b32_e32 v6, 0x7fffff, v20
	v_or_b32_e32 v24, 0x800000, v6
	v_mad_u64_u32 v[8:9], s[2:3], v24, s26, 0
	v_lshrrev_b32_e32 v3, 23, v20
	v_add_u32_e32 v11, 0xffffff88, v3
	v_mov_b32_e32 v6, v9
	v_mad_u64_u32 v[9:10], s[2:3], v24, s25, v[6:7]
	v_mul_f32_e64 v2, |v14|, s10
	s_waitcnt vmcnt(0)
	v_and_b32_e32 v13, 0x7fffffff, v12
	v_cmp_lt_u32_e32 vcc, 63, v11
	v_rndne_f32_e32 v18, v2
	v_and_b32_e32 v2, 0x7fffff, v13
	v_cndmask_b32_e32 v21, 0, v17, vcc
	v_mov_b32_e32 v6, v10
	v_or_b32_e32 v19, 0x800000, v2
	v_add_u32_e32 v21, v21, v11
	v_mad_u64_u32 v[10:11], s[2:3], v24, s24, v[6:7]
	v_mad_u64_u32 v[2:3], s[2:3], v19, s26, 0
	v_cmp_lt_u32_e64 s[2:3], 31, v21
	v_cndmask_b32_e64 v6, 0, v16, s[2:3]
	v_add_u32_e32 v23, v6, v21
	v_mov_b32_e32 v6, v11
	v_mad_u64_u32 v[21:22], s[4:5], v24, s19, v[6:7]
	v_cmp_lt_u32_e64 s[4:5], 31, v23
	v_cndmask_b32_e64 v6, 0, v16, s[4:5]
	v_add_u32_e32 v25, v6, v23
	v_mov_b32_e32 v6, v22
	v_mad_u64_u32 v[22:23], s[6:7], v24, s18, v[6:7]
	v_cndmask_b32_e32 v6, v10, v8, vcc
	v_cndmask_b32_e32 v11, v21, v9, vcc
	v_cndmask_b32_e64 v27, v11, v6, s[2:3]
	v_mov_b32_e32 v6, v23
	v_mad_u64_u32 v[8:9], s[6:7], v24, s17, v[6:7]
	v_cndmask_b32_e32 v10, v22, v10, vcc
	v_cndmask_b32_e64 v11, v10, v11, s[2:3]
	v_mov_b32_e32 v6, v9
	v_cndmask_b32_e32 v21, v8, v21, vcc
	v_mad_u64_u32 v[23:24], s[6:7], v24, s16, v[6:7]
	v_cndmask_b32_e64 v9, v21, v10, s[2:3]
	v_mov_b32_e32 v6, v3
	v_cndmask_b32_e64 v27, v11, v27, s[4:5]
	v_cndmask_b32_e64 v3, v9, v11, s[4:5]
	v_mad_u64_u32 v[10:11], s[6:7], v19, s25, v[6:7]
	v_cndmask_b32_e32 v6, v23, v22, vcc
	v_cndmask_b32_e32 v8, v24, v8, vcc
	v_cndmask_b32_e64 v21, v6, v21, s[2:3]
	v_cndmask_b32_e64 v8, v8, v6, s[2:3]
	v_sub_u32_e32 v26, 32, v25
	v_mov_b32_e32 v6, v11
	v_cndmask_b32_e64 v11, v8, v21, s[4:5]
	v_cndmask_b32_e64 v21, v21, v9, s[4:5]
	v_mad_u64_u32 v[8:9], s[2:3], v19, s24, v[6:7]
	v_alignbit_b32 v6, v11, v21, v26
	v_cmp_eq_u32_e32 vcc, 0, v25
	v_alignbit_b32 v22, v21, v3, v26
	v_cndmask_b32_e32 v6, v6, v11, vcc
	v_alignbit_b32 v28, v3, v27, v26
	v_cndmask_b32_e32 v11, v22, v21, vcc
	v_bfe_u32 v23, v6, 29, 1
	v_cndmask_b32_e32 v3, v28, v3, vcc
	v_alignbit_b32 v21, v6, v11, 30
	v_lshrrev_b32_e32 v22, 29, v6
	v_lshrrev_b32_e32 v6, 30, v6
	v_sub_u32_e32 v25, 0, v23
	v_alignbit_b32 v24, v11, v3, 30
	v_add_u32_e32 v11, v23, v6
	v_mov_b32_e32 v6, v9
	v_xor_b32_e32 v9, v21, v25
	v_xor_b32_e32 v21, v24, v25
	v_ffbh_u32_e32 v24, v9
	v_alignbit_b32 v3, v3, v27, 30
	v_min_u32_e32 v24, 32, v24
	v_lshlrev_b32_e32 v22, 31, v22
	v_xor_b32_e32 v3, v3, v25
	v_sub_u32_e32 v25, 31, v24
	v_or_b32_e32 v23, 0x33000000, v22
	v_or_b32_e32 v22, 0.5, v22
	v_lshlrev_b32_e32 v26, 23, v24
	v_alignbit_b32 v9, v9, v21, v25
	v_alignbit_b32 v3, v21, v3, v25
	v_sub_u32_e32 v21, v22, v26
	v_alignbit_b32 v22, v9, v3, 9
	v_lshrrev_b32_e32 v9, 9, v9
	v_ffbh_u32_e32 v25, v22
	v_or_b32_e32 v9, v9, v21
	v_min_u32_e32 v21, 32, v25
	v_not_b32_e32 v26, v21
	v_mul_f32_e32 v25, 0x3fc90fda, v9
	v_add_lshl_u32 v21, v21, v24, 23
	v_alignbit_b32 v3, v22, v3, v26
	v_fma_f32 v24, v9, s11, -v25
	v_sub_u32_e32 v21, v23, v21
	v_lshrrev_b32_e32 v3, 9, v3
	v_fmac_f32_e32 v24, 0x33a22168, v9
	v_or_b32_e32 v3, v21, v3
	v_fmac_f32_e32 v24, 0x3fc90fda, v3
	v_mov_b32_e32 v3, s37
	v_add_co_u32_e32 v21, vcc, s36, v0
	v_addc_co_u32_e32 v22, vcc, v3, v1, vcc
	global_load_dword v3, v[21:22], off
	v_mad_u64_u32 v[21:22], s[2:3], v19, s19, v[6:7]
	v_lshrrev_b32_e32 v6, 23, v13
	v_add_f32_e32 v9, v25, v24
	v_add_u32_e32 v24, 0xffffff88, v6
	v_mov_b32_e32 v6, v22
	v_mad_u64_u32 v[22:23], s[2:3], v19, s18, v[6:7]
	v_cmp_lt_u32_e32 vcc, 63, v24
	v_cndmask_b32_e32 v6, 0, v17, vcc
	v_add_u32_e32 v25, v6, v24
	v_mov_b32_e32 v6, v23
	v_mad_u64_u32 v[23:24], s[2:3], v19, s17, v[6:7]
	v_cmp_lt_u32_e64 s[2:3], 31, v25
	v_cndmask_b32_e64 v6, 0, v16, s[2:3]
	v_add_u32_e32 v26, v6, v25
	v_mov_b32_e32 v6, v24
	v_mad_u64_u32 v[24:25], s[4:5], v19, s16, v[6:7]
	v_cmp_lt_u32_e64 s[4:5], 31, v26
	v_cndmask_b32_e64 v6, 0, v16, s[4:5]
	v_cndmask_b32_e32 v19, v23, v21, vcc
	v_cndmask_b32_e32 v24, v24, v22, vcc
	;; [unrolled: 1-line block ×4, first 2 shown]
	v_add_u32_e32 v6, v6, v26
	v_cndmask_b32_e64 v26, v24, v19, s[2:3]
	v_cndmask_b32_e64 v23, v23, v24, s[2:3]
	;; [unrolled: 1-line block ×3, first 2 shown]
	v_cndmask_b32_e32 v10, v21, v10, vcc
	v_cndmask_b32_e64 v23, v23, v26, s[4:5]
	v_cndmask_b32_e64 v24, v26, v19, s[4:5]
	v_sub_u32_e32 v25, 32, v6
	v_cndmask_b32_e64 v21, v22, v10, s[2:3]
	v_alignbit_b32 v26, v23, v24, v25
	v_cmp_eq_u32_e64 s[6:7], 0, v6
	v_cndmask_b32_e64 v19, v19, v21, s[4:5]
	v_cndmask_b32_e64 v6, v26, v23, s[6:7]
	v_alignbit_b32 v22, v24, v19, v25
	v_cndmask_b32_e32 v2, v8, v2, vcc
	v_cndmask_b32_e64 v22, v22, v24, s[6:7]
	v_bfe_u32 v26, v6, 29, 1
	v_cndmask_b32_e64 v2, v10, v2, s[2:3]
	v_alignbit_b32 v23, v6, v22, 30
	v_sub_u32_e32 v27, 0, v26
	v_cndmask_b32_e64 v2, v21, v2, s[4:5]
	v_xor_b32_e32 v23, v23, v27
	v_alignbit_b32 v8, v19, v2, v25
	v_cndmask_b32_e64 v8, v8, v19, s[6:7]
	v_ffbh_u32_e32 v19, v23
	v_alignbit_b32 v10, v22, v8, 30
	v_min_u32_e32 v19, 32, v19
	v_alignbit_b32 v2, v8, v2, 30
	v_xor_b32_e32 v10, v10, v27
	v_sub_u32_e32 v21, 31, v19
	v_xor_b32_e32 v2, v2, v27
	v_alignbit_b32 v22, v23, v10, v21
	v_alignbit_b32 v2, v10, v2, v21
	;; [unrolled: 1-line block ×3, first 2 shown]
	v_ffbh_u32_e32 v10, v8
	v_min_u32_e32 v10, 32, v10
	v_lshrrev_b32_e32 v24, 29, v6
	v_not_b32_e32 v21, v10
	v_alignbit_b32 v2, v8, v2, v21
	v_lshlrev_b32_e32 v8, 31, v24
	v_or_b32_e32 v21, 0x33000000, v8
	v_add_lshl_u32 v10, v10, v19, 23
	v_lshrrev_b32_e32 v2, 9, v2
	v_sub_u32_e32 v10, v21, v10
	v_or_b32_e32 v8, 0.5, v8
	v_lshlrev_b32_e32 v19, 23, v19
	v_or_b32_e32 v10, v10, v2
	v_lshrrev_b32_e32 v2, 9, v22
	v_sub_u32_e32 v8, v8, v19
	v_or_b32_e32 v2, v2, v8
	v_mul_f32_e32 v8, 0x3fc90fda, v2
	v_fma_f32 v19, v2, s11, -v8
	v_fmac_f32_e32 v19, 0x33a22168, v2
	s_waitcnt vmcnt(0)
	v_and_b32_e32 v2, 0x7fffffff, v3
	v_and_b32_e32 v21, 0x7fffff, v2
	v_or_b32_e32 v28, 0x800000, v21
	v_mad_u64_u32 v[21:22], s[2:3], v28, s26, 0
	v_fmac_f32_e32 v19, 0x3fc90fda, v10
	v_lshrrev_b32_e32 v10, 30, v6
	v_mov_b32_e32 v6, v22
	v_mad_u64_u32 v[22:23], s[2:3], v28, s25, v[6:7]
	v_mul_f32_e64 v6, |v12|, s10
	v_add_f32_e32 v8, v8, v19
	v_rndne_f32_e32 v19, v6
	v_mov_b32_e32 v6, v23
	v_mad_u64_u32 v[23:24], s[2:3], v28, s24, v[6:7]
	v_add_u32_e32 v10, v26, v10
	v_fma_f32 v15, v18, s9, |v14|
	v_mov_b32_e32 v6, v24
	v_mad_u64_u32 v[24:25], s[2:3], v28, s19, v[6:7]
	v_lshrrev_b32_e32 v6, 23, v2
	v_add_u32_e32 v27, 0xffffff88, v6
	v_mov_b32_e32 v6, v25
	v_mad_u64_u32 v[25:26], s[2:3], v28, s18, v[6:7]
	v_cmp_lt_u32_e32 vcc, 63, v27
	v_cndmask_b32_e32 v6, 0, v17, vcc
	v_add_u32_e32 v17, v6, v27
	v_mov_b32_e32 v6, v26
	v_mad_u64_u32 v[26:27], s[2:3], v28, s17, v[6:7]
	v_cmp_lt_u32_e64 s[2:3], 31, v17
	v_cndmask_b32_e64 v6, 0, v16, s[2:3]
	v_add_u32_e32 v17, v6, v17
	v_mov_b32_e32 v6, v27
	v_mad_u64_u32 v[27:28], s[4:5], v28, s16, v[6:7]
	v_cmp_lt_u32_e64 s[4:5], 31, v17
	v_cndmask_b32_e64 v6, 0, v16, s[4:5]
	v_add_u32_e32 v6, v6, v17
	v_cndmask_b32_e32 v16, v26, v24, vcc
	v_cndmask_b32_e32 v17, v27, v25, vcc
	;; [unrolled: 1-line block ×4, first 2 shown]
	v_cndmask_b32_e64 v27, v17, v16, s[2:3]
	v_cndmask_b32_e64 v17, v26, v17, s[2:3]
	;; [unrolled: 1-line block ×5, first 2 shown]
	v_sub_u32_e32 v27, 32, v6
	v_alignbit_b32 v28, v17, v26, v27
	v_cmp_eq_u32_e64 s[6:7], 0, v6
	v_cndmask_b32_e64 v6, v28, v17, s[6:7]
	v_cndmask_b32_e32 v17, v24, v22, vcc
	v_cndmask_b32_e64 v22, v25, v17, s[2:3]
	v_cndmask_b32_e64 v16, v16, v22, s[4:5]
	v_alignbit_b32 v24, v26, v16, v27
	v_cndmask_b32_e32 v21, v23, v21, vcc
	v_cndmask_b32_e64 v24, v24, v26, s[6:7]
	v_bfe_u32 v28, v6, 29, 1
	v_cndmask_b32_e64 v17, v17, v21, s[2:3]
	v_alignbit_b32 v25, v6, v24, 30
	v_sub_u32_e32 v30, 0, v28
	v_cndmask_b32_e64 v17, v22, v17, s[4:5]
	v_xor_b32_e32 v25, v25, v30
	v_alignbit_b32 v21, v16, v17, v27
	v_cndmask_b32_e64 v16, v21, v16, s[6:7]
	v_ffbh_u32_e32 v22, v25
	v_alignbit_b32 v21, v24, v16, 30
	v_min_u32_e32 v22, 32, v22
	v_alignbit_b32 v16, v16, v17, 30
	v_xor_b32_e32 v21, v21, v30
	v_sub_u32_e32 v23, 31, v22
	v_xor_b32_e32 v16, v16, v30
	v_alignbit_b32 v24, v25, v21, v23
	v_alignbit_b32 v16, v21, v16, v23
	;; [unrolled: 1-line block ×3, first 2 shown]
	v_ffbh_u32_e32 v21, v17
	v_min_u32_e32 v21, 32, v21
	v_lshrrev_b32_e32 v26, 29, v6
	v_not_b32_e32 v23, v21
	v_alignbit_b32 v16, v17, v16, v23
	v_lshlrev_b32_e32 v17, 31, v26
	v_or_b32_e32 v23, 0x33000000, v17
	v_add_lshl_u32 v21, v21, v22, 23
	v_lshrrev_b32_e32 v16, 9, v16
	v_sub_u32_e32 v21, v23, v21
	v_or_b32_e32 v17, 0.5, v17
	v_lshlrev_b32_e32 v22, 23, v22
	v_or_b32_e32 v16, v21, v16
	v_lshrrev_b32_e32 v21, 9, v24
	v_sub_u32_e32 v17, v17, v22
	v_or_b32_e32 v17, v21, v17
	v_mul_f32_e32 v21, 0x3fc90fda, v17
	v_fma_f32 v22, v17, s11, -v21
	v_fmac_f32_e32 v22, 0x33a22168, v17
	v_mul_f32_e64 v17, |v3|, s10
	v_fmac_f32_e32 v15, 0xb3a22168, v18
	v_fma_f32 v29, v19, s9, |v12|
	v_fmac_f32_e32 v22, 0x3fc90fda, v16
	v_rndne_f32_e32 v17, v17
	v_fmac_f32_e32 v15, 0xa7c234c4, v18
	v_cvt_i32_f32_e32 v18, v18
	v_fmac_f32_e32 v29, 0xb3a22168, v19
	v_add_f32_e32 v16, v21, v22
	v_fma_f32 v21, v17, s9, |v3|
	v_fmac_f32_e32 v29, 0xa7c234c4, v19
	v_cvt_i32_f32_e32 v19, v19
	v_fmac_f32_e32 v21, 0xb3a22168, v17
	v_fmac_f32_e32 v21, 0xa7c234c4, v17
	v_cvt_i32_f32_e32 v17, v17
	v_cmp_lt_f32_e64 vcc, |v14|, s8
	v_lshrrev_b32_e32 v6, 30, v6
	v_cndmask_b32_e32 v23, v9, v15, vcc
	v_cndmask_b32_e32 v11, v11, v18, vcc
	v_cmp_lt_f32_e64 vcc, |v12|, s8
	v_add_u32_e32 v6, v28, v6
	v_cndmask_b32_e32 v15, v8, v29, vcc
	v_cndmask_b32_e32 v22, v10, v19, vcc
	v_cmp_lt_f32_e64 vcc, |v3|, s8
	v_cndmask_b32_e32 v10, v6, v17, vcc
	v_mul_f32_e32 v6, v23, v23
	v_mov_b32_e32 v8, 0x3c0881c4
	v_fmac_f32_e32 v8, 0xb94c1982, v6
	v_mov_b32_e32 v17, 0xbe2aaa9d
	v_fma_f32 v8, v6, v8, v17
	v_mul_f32_e32 v8, v6, v8
	v_fmac_f32_e32 v23, v23, v8
	v_mov_b32_e32 v8, 0xbab64f3b
	v_fmac_f32_e32 v8, 0x37d75334, v6
	v_mov_b32_e32 v19, 0x3d2aabf7
	v_cndmask_b32_e32 v9, v16, v21, vcc
	v_fma_f32 v8, v6, v8, v19
	v_mov_b32_e32 v21, 0xbf000004
	v_fma_f32 v8, v6, v8, v21
	v_fma_f32 v6, v6, v8, 1.0
	v_and_b32_e32 v8, 1, v11
	v_cmp_eq_u32_e32 vcc, 0, v8
	v_cndmask_b32_e32 v8, v6, v23, vcc
	v_lshlrev_b32_e32 v11, 30, v11
	v_and_b32_e32 v24, 0x80000000, v11
	v_xor_b32_e32 v8, v14, v8
	s_movk_i32 s4, 0x1f8
	v_cndmask_b32_e64 v6, -v23, v6, vcc
	v_xor_b32_e32 v8, v8, v20
	v_mov_b32_e32 v20, 0x7fc00000
	v_cmp_class_f32_e64 s[2:3], v14, s4
	v_xor_b32_e32 v6, v24, v6
	v_cndmask_b32_e64 v14, v20, v6, s[2:3]
	v_mul_f32_e32 v23, v15, v15
	v_mov_b32_e32 v6, 0x3c0881c4
	v_fmac_f32_e32 v6, 0xb94c1982, v23
	v_xor_b32_e32 v8, v8, v24
	v_fma_f32 v24, v23, v6, v17
	v_mov_b32_e32 v6, s39
	v_add_co_u32_e32 v25, vcc, s38, v0
	v_addc_co_u32_e32 v26, vcc, v6, v1, vcc
	v_cndmask_b32_e64 v11, v20, v8, s[2:3]
	global_load_dword v6, v[25:26], off
	v_mov_b32_e32 v8, s41
	v_add_co_u32_e32 v25, vcc, s40, v0
	v_addc_co_u32_e32 v26, vcc, v8, v1, vcc
	global_load_dword v8, v[25:26], off
	v_mov_b32_e32 v25, s43
	v_add_co_u32_e32 v0, vcc, s42, v0
	v_addc_co_u32_e32 v1, vcc, v25, v1, vcc
	global_load_dword v25, v[0:1], off
	v_mul_f32_e32 v0, v23, v24
	v_fmac_f32_e32 v15, v15, v0
	v_mov_b32_e32 v0, 0xbab64f3b
	v_fmac_f32_e32 v0, 0x37d75334, v23
	v_fma_f32 v0, v23, v0, v19
	v_fma_f32 v0, v23, v0, v21
	v_and_b32_e32 v1, 1, v22
	v_fma_f32 v0, v23, v0, 1.0
	v_cmp_eq_u32_e32 vcc, 0, v1
	v_cndmask_b32_e32 v1, v0, v15, vcc
	v_lshlrev_b32_e32 v22, 30, v22
	v_xor_b32_e32 v1, v12, v1
	v_and_b32_e32 v22, 0x80000000, v22
	v_xor_b32_e32 v1, v1, v13
	v_xor_b32_e32 v1, v1, v22
	v_cmp_class_f32_e64 s[2:3], v12, s4
	v_mov_b32_e32 v16, 0x3c0881c4
	v_cndmask_b32_e64 v12, v20, v1, s[2:3]
	v_mul_f32_e32 v1, v9, v9
	v_mov_b32_e32 v18, 0xbab64f3b
	v_fmac_f32_e32 v16, 0xb94c1982, v1
	v_fmac_f32_e32 v17, v1, v16
	v_fmac_f32_e32 v18, 0x37d75334, v1
	v_mul_f32_e32 v13, v1, v17
	v_fmac_f32_e32 v19, v1, v18
	v_fmac_f32_e32 v9, v9, v13
	;; [unrolled: 1-line block ×3, first 2 shown]
	v_and_b32_e32 v13, 1, v10
	v_cndmask_b32_e64 v0, -v15, v0, vcc
	v_fma_f32 v1, v1, v21, 1.0
	v_cmp_eq_u32_e32 vcc, 0, v13
	v_cndmask_b32_e32 v13, v1, v9, vcc
	v_lshlrev_b32_e32 v10, 30, v10
	v_xor_b32_e32 v13, v3, v13
	v_xor_b32_e32 v0, v22, v0
	v_and_b32_e32 v10, 0x80000000, v10
	v_xor_b32_e32 v2, v13, v2
	v_cndmask_b32_e64 v1, -v9, v1, vcc
	v_cndmask_b32_e64 v0, v20, v0, s[2:3]
	v_xor_b32_e32 v2, v2, v10
	v_cmp_class_f32_e64 s[2:3], v3, s4
	v_xor_b32_e32 v1, v10, v1
	v_cndmask_b32_e64 v2, v20, v2, s[2:3]
	v_cndmask_b32_e64 v1, v20, v1, s[2:3]
	v_cmp_gt_u64_e64 s[2:3], s[14:15], 1
	v_mul_f32_e32 v3, v11, v12
	s_and_b64 s[2:3], s[2:3], exec
	v_cmp_gt_u64_e64 s[2:3], s[12:13], 1
	v_mul_f32_e32 v10, v14, v2
	v_mul_f32_e32 v17, v14, v12
	s_cselect_b32 s25, s15, 0
	s_cselect_b32 s24, s14, 1
	s_and_b64 s[2:3], s[2:3], exec
	v_mul_f32_e32 v9, v0, v1
	v_fma_f32 v10, v3, v1, -v10
	v_mul_f32_e32 v13, v17, v1
	v_mul_f32_e32 v16, v14, v1
	;; [unrolled: 1-line block ×3, first 2 shown]
	s_cselect_b32 s27, s13, 0
	s_cselect_b32 s26, s12, 1
	s_add_u32 s30, s20, 8
	v_fmac_f32_e32 v13, v11, v2
	v_mul_f32_e32 v15, v0, v2
	v_fmac_f32_e32 v16, v3, v2
	v_fma_f32 v17, v17, v2, -v1
	v_mul_f32_e32 v11, v11, v0
	v_mul_f32_e32 v14, v14, v0
	s_addc_u32 s31, s21, 0
	s_movk_i32 s40, 0x45
	s_mov_b32 s41, 0xf800000
	v_mov_b32_e32 v19, 0x260
	v_mov_b32_e32 v20, 0x40b00000
	;; [unrolled: 1-line block ×6, first 2 shown]
	s_waitcnt vmcnt(0) lgkmcnt(0)
	s_barrier
.LBB0_4:                                ; =>This Loop Header: Depth=1
                                        ;     Child Loop BB0_5 Depth 2
	s_lshl_b64 s[2:3], s[34:35], 4
	s_add_u32 s2, s22, s2
	s_addc_u32 s3, s23, s3
	global_load_dwordx4 v[27:30], v7, s[2:3]
	s_mov_b64 s[36:37], s[24:25]
	s_mov_b64 s[38:39], s[30:31]
	s_waitcnt vmcnt(0)
	v_lshlrev_b32_e32 v0, 4, v30
	v_add_u32_e32 v0, 0, v0
	ds_read_b128 v[0:3], v0
	v_fma_f32 v24, v9, v27, v6
	v_fma_f32 v26, v15, v27, v8
	v_fma_f32 v27, -v12, v27, v25
	v_fmac_f32_e32 v24, v10, v28
	v_fmac_f32_e32 v26, v16, v28
	;; [unrolled: 1-line block ×3, first 2 shown]
	s_waitcnt lgkmcnt(0)
	v_cmp_gt_f32_e64 s[8:9], 0, v2
	v_fmac_f32_e32 v24, v13, v29
	v_fmac_f32_e32 v26, v17, v29
	;; [unrolled: 1-line block ×3, first 2 shown]
	v_cmp_lt_f32_e64 s[2:3], 0, v2
	v_cmp_eq_u32_e64 s[4:5], s33, v0
	v_cmp_eq_u32_e64 s[6:7], s40, v0
	v_cndmask_b32_e64 v0, 1.0, v20, s[8:9]
	v_cndmask_b32_e64 v28, v21, 1.0, s[8:9]
.LBB0_5:                                ;   Parent Loop BB0_4 Depth=1
                                        ; =>  This Inner Loop Header: Depth=2
	global_load_dwordx4 v[29:32], v7, s[38:39] offset:-8
	s_waitcnt vmcnt(0)
	v_lshlrev_b32_e32 v32, 4, v32
	v_add_u32_e32 v32, 0, v32
	v_sub_f32_e32 v30, v26, v30
	ds_read_b128 v[33:36], v32
	v_sub_f32_e32 v29, v24, v29
	v_mul_f32_e32 v30, v30, v30
	v_sub_f32_e32 v31, v27, v31
	v_fmac_f32_e32 v30, v29, v29
	v_fmac_f32_e32 v30, v31, v31
	v_mul_f32_e32 v29, 0x4f800000, v30
	v_cmp_gt_f32_e32 vcc, s41, v30
	v_cndmask_b32_e32 v32, v30, v29, vcc
	s_waitcnt lgkmcnt(0)
	v_add_f32_e32 v29, v1, v34
	v_cmp_lt_f32_e64 s[18:19], 0, v35
	v_cmp_gt_f32_e64 s[20:21], 0, v35
	v_cmp_eq_u32_e64 s[16:17], s33, v33
	v_cmp_eq_u32_e64 s[10:11], s40, v33
	v_cndmask_b32_e64 v30, v28, v0, s[20:21]
	v_div_scale_f32 v33, s[12:13], v29, v29, 1.0
	s_and_b64 s[18:19], s[18:19], s[8:9]
	v_cndmask_b32_e64 v38, v2, -v2, s[18:19]
	v_div_scale_f32 v39, s[18:19], v30, v30, 1.0
	v_div_scale_f32 v34, s[12:13], 1.0, v29, 1.0
	v_div_scale_f32 v40, s[18:19], 1.0, v30, 1.0
	v_sqrt_f32_e32 v37, v32
	s_and_b64 s[20:21], s[20:21], s[2:3]
	v_cmp_neq_f32_e64 s[14:15], 0, v35
	s_and_b64 s[16:17], s[16:17], s[4:5]
	v_add_u32_e32 v41, -1, v37
	v_cndmask_b32_e64 v35, v35, -v35, s[20:21]
	v_add_u32_e32 v42, 1, v37
	v_fma_f32 v43, -v41, v37, v32
	v_mul_f32_e32 v31, v3, v36
	v_cndmask_b32_e64 v36, 2.0, 4.0, s[16:17]
	v_add_f32_e32 v35, v35, v38
	v_cndmask_b32_e64 v38, 0.5, v22, s[16:17]
	v_fma_f32 v44, -v42, v37, v32
	v_cmp_ge_f32_e64 s[16:17], 0, v43
	v_cndmask_b32_e64 v37, v37, v41, s[16:17]
	v_cmp_lt_f32_e64 s[16:17], 0, v44
	v_cndmask_b32_e64 v37, v37, v42, s[16:17]
	v_rcp_f32_e32 v42, v33
	v_rcp_f32_e32 v43, v39
	v_mul_f32_e32 v41, 0x37800000, v37
	v_cndmask_b32_e32 v37, v37, v41, vcc
	v_fma_f32 v44, -v33, v42, 1.0
	v_cmp_class_f32_e32 vcc, v32, v19
	v_fma_f32 v45, -v39, v43, 1.0
	v_fmac_f32_e32 v42, v44, v42
	v_cndmask_b32_e32 v32, v37, v32, vcc
	v_fmac_f32_e32 v43, v45, v43
	v_mul_f32_e32 v44, v34, v42
	v_sub_f32_e32 v37, v32, v29
	v_mul_f32_e32 v45, v40, v43
	v_fma_f32 v46, -v33, v44, v34
	v_cmp_lt_f32_e32 vcc, v37, v30
	v_fma_f32 v47, -v39, v45, v40
	v_fmac_f32_e32 v44, v46, v42
	s_and_b64 s[14:15], s[14:15], vcc
	v_fmac_f32_e32 v45, v47, v43
	v_fma_f32 v33, -v33, v44, v34
	s_mov_b64 vcc, s[12:13]
	v_fma_f32 v34, -v39, v45, v40
	v_div_fmas_f32 v33, v33, v42, v44
	s_mov_b64 vcc, s[18:19]
	v_div_fmas_f32 v34, v34, v43, v45
	v_fma_f32 v38, -v37, v38, 1.0
	v_cmp_gt_f32_e64 s[16:17], 0, v37
	v_cmp_lt_f32_e64 s[20:21], v37, v36
	v_cndmask_b32_e64 v36, 0, 1.0, s[20:21]
	v_cndmask_b32_e64 v38, v38, 1.0, s[16:17]
	s_or_b64 s[10:11], s[10:11], s[6:7]
	v_mul_f32_e32 v36, v36, v38
	s_add_u32 s38, s38, 16
	v_cndmask_b32_e64 v41, 0, v23, s[16:17]
	v_mul_f32_e32 v31, v31, v36
	s_addc_u32 s39, s39, 0
	v_cndmask_b32_e64 v39, 0, 1.0, s[14:15]
	v_cndmask_b32_e64 v31, v31, -|v31|, s[10:11]
	v_div_fixup_f32 v29, v33, v29, 1.0
	v_fma_f32 v29, -v32, v29, 1.0
	v_div_fixup_f32 v30, v34, v30, 1.0
	s_add_u32 s36, s36, -1
	v_fma_f32 v30, -v37, v30, 1.0
	v_fmac_f32_e32 v18, v29, v41
	v_mul_f32_e32 v35, v35, v39
	s_addc_u32 s37, s37, -1
	v_cndmask_b32_e64 v29, v30, 1.0, s[16:17]
	v_fmac_f32_e32 v18, 0x42340000, v31
	s_cmp_lg_u64 s[36:37], 0
	v_fmac_f32_e32 v18, v35, v29
	s_cbranch_scc1 .LBB0_5
; %bb.6:                                ;   in Loop: Header=BB0_4 Depth=1
	s_add_u32 s34, s34, 1
	s_addc_u32 s35, s35, 0
	s_cmp_lg_u64 s[34:35], s[26:27]
	s_cbranch_scc1 .LBB0_4
; %bb.7:
	s_and_saveexec_b64 s[2:3], s[0:1]
	s_cbranch_execz .LBB0_9
; %bb.8:
	v_lshlrev_b64 v[0:1], 2, v[4:5]
	v_mov_b32_e32 v3, s29
	v_add_co_u32_e32 v0, vcc, s28, v0
	v_mul_f32_e32 v2, 0.5, v18
	v_addc_co_u32_e32 v1, vcc, v3, v1, vcc
	global_store_dword v[0:1], v2, off
.LBB0_9:
	s_endpgm
	.section	.rodata,"a",@progbits
	.p2align	6, 0x0
	.amdhsa_kernel _Z11fasten_mainmmmmPK4AtomS1_PKfS3_S3_S3_S3_S3_PK8FFParamsPf
		.amdhsa_group_segment_fixed_size 0
		.amdhsa_private_segment_fixed_size 0
		.amdhsa_kernarg_size 368
		.amdhsa_user_sgpr_count 6
		.amdhsa_user_sgpr_private_segment_buffer 1
		.amdhsa_user_sgpr_dispatch_ptr 0
		.amdhsa_user_sgpr_queue_ptr 0
		.amdhsa_user_sgpr_kernarg_segment_ptr 1
		.amdhsa_user_sgpr_dispatch_id 0
		.amdhsa_user_sgpr_flat_scratch_init 0
		.amdhsa_user_sgpr_private_segment_size 0
		.amdhsa_uses_dynamic_stack 0
		.amdhsa_system_sgpr_private_segment_wavefront_offset 0
		.amdhsa_system_sgpr_workgroup_id_x 1
		.amdhsa_system_sgpr_workgroup_id_y 0
		.amdhsa_system_sgpr_workgroup_id_z 0
		.amdhsa_system_sgpr_workgroup_info 0
		.amdhsa_system_vgpr_workitem_id 0
		.amdhsa_next_free_vgpr 48
		.amdhsa_next_free_sgpr 44
		.amdhsa_reserve_vcc 1
		.amdhsa_reserve_flat_scratch 0
		.amdhsa_float_round_mode_32 0
		.amdhsa_float_round_mode_16_64 0
		.amdhsa_float_denorm_mode_32 3
		.amdhsa_float_denorm_mode_16_64 3
		.amdhsa_dx10_clamp 1
		.amdhsa_ieee_mode 1
		.amdhsa_fp16_overflow 0
		.amdhsa_exception_fp_ieee_invalid_op 0
		.amdhsa_exception_fp_denorm_src 0
		.amdhsa_exception_fp_ieee_div_zero 0
		.amdhsa_exception_fp_ieee_overflow 0
		.amdhsa_exception_fp_ieee_underflow 0
		.amdhsa_exception_fp_ieee_inexact 0
		.amdhsa_exception_int_div_zero 0
	.end_amdhsa_kernel
	.text
.Lfunc_end0:
	.size	_Z11fasten_mainmmmmPK4AtomS1_PKfS3_S3_S3_S3_S3_PK8FFParamsPf, .Lfunc_end0-_Z11fasten_mainmmmmPK4AtomS1_PKfS3_S3_S3_S3_S3_PK8FFParamsPf
                                        ; -- End function
	.set _Z11fasten_mainmmmmPK4AtomS1_PKfS3_S3_S3_S3_S3_PK8FFParamsPf.num_vgpr, 48
	.set _Z11fasten_mainmmmmPK4AtomS1_PKfS3_S3_S3_S3_S3_PK8FFParamsPf.num_agpr, 0
	.set _Z11fasten_mainmmmmPK4AtomS1_PKfS3_S3_S3_S3_S3_PK8FFParamsPf.numbered_sgpr, 44
	.set _Z11fasten_mainmmmmPK4AtomS1_PKfS3_S3_S3_S3_S3_PK8FFParamsPf.num_named_barrier, 0
	.set _Z11fasten_mainmmmmPK4AtomS1_PKfS3_S3_S3_S3_S3_PK8FFParamsPf.private_seg_size, 0
	.set _Z11fasten_mainmmmmPK4AtomS1_PKfS3_S3_S3_S3_S3_PK8FFParamsPf.uses_vcc, 1
	.set _Z11fasten_mainmmmmPK4AtomS1_PKfS3_S3_S3_S3_S3_PK8FFParamsPf.uses_flat_scratch, 0
	.set _Z11fasten_mainmmmmPK4AtomS1_PKfS3_S3_S3_S3_S3_PK8FFParamsPf.has_dyn_sized_stack, 0
	.set _Z11fasten_mainmmmmPK4AtomS1_PKfS3_S3_S3_S3_S3_PK8FFParamsPf.has_recursion, 0
	.set _Z11fasten_mainmmmmPK4AtomS1_PKfS3_S3_S3_S3_S3_PK8FFParamsPf.has_indirect_call, 0
	.section	.AMDGPU.csdata,"",@progbits
; Kernel info:
; codeLenInByte = 3644
; TotalNumSgprs: 48
; NumVgprs: 48
; ScratchSize: 0
; MemoryBound: 0
; FloatMode: 240
; IeeeMode: 1
; LDSByteSize: 0 bytes/workgroup (compile time only)
; SGPRBlocks: 5
; VGPRBlocks: 11
; NumSGPRsForWavesPerEU: 48
; NumVGPRsForWavesPerEU: 48
; Occupancy: 5
; WaveLimiterHint : 0
; COMPUTE_PGM_RSRC2:SCRATCH_EN: 0
; COMPUTE_PGM_RSRC2:USER_SGPR: 6
; COMPUTE_PGM_RSRC2:TRAP_HANDLER: 0
; COMPUTE_PGM_RSRC2:TGID_X_EN: 1
; COMPUTE_PGM_RSRC2:TGID_Y_EN: 0
; COMPUTE_PGM_RSRC2:TGID_Z_EN: 0
; COMPUTE_PGM_RSRC2:TIDIG_COMP_CNT: 0
	.section	.AMDGPU.gpr_maximums,"",@progbits
	.set amdgpu.max_num_vgpr, 0
	.set amdgpu.max_num_agpr, 0
	.set amdgpu.max_num_sgpr, 0
	.section	.AMDGPU.csdata,"",@progbits
	.type	__hip_cuid_cfc7b153d0f4eb12,@object ; @__hip_cuid_cfc7b153d0f4eb12
	.section	.bss,"aw",@nobits
	.globl	__hip_cuid_cfc7b153d0f4eb12
__hip_cuid_cfc7b153d0f4eb12:
	.byte	0                               ; 0x0
	.size	__hip_cuid_cfc7b153d0f4eb12, 1

	.ident	"AMD clang version 22.0.0git (https://github.com/RadeonOpenCompute/llvm-project roc-7.2.4 26084 f58b06dce1f9c15707c5f808fd002e18c2accf7e)"
	.section	".note.GNU-stack","",@progbits
	.addrsig
	.addrsig_sym __hip_cuid_cfc7b153d0f4eb12
	.amdgpu_metadata
---
amdhsa.kernels:
  - .args:
      - .offset:         0
        .size:           8
        .value_kind:     by_value
      - .offset:         8
        .size:           8
        .value_kind:     by_value
      - .offset:         16
        .size:           8
        .value_kind:     by_value
      - .offset:         24
        .size:           8
        .value_kind:     by_value
      - .actual_access:  read_only
        .address_space:  global
        .offset:         32
        .size:           8
        .value_kind:     global_buffer
      - .actual_access:  read_only
        .address_space:  global
        .offset:         40
        .size:           8
        .value_kind:     global_buffer
      - .actual_access:  read_only
        .address_space:  global
        .offset:         48
        .size:           8
        .value_kind:     global_buffer
      - .actual_access:  read_only
        .address_space:  global
        .offset:         56
        .size:           8
        .value_kind:     global_buffer
      - .actual_access:  read_only
        .address_space:  global
        .offset:         64
        .size:           8
        .value_kind:     global_buffer
      - .actual_access:  read_only
        .address_space:  global
        .offset:         72
        .size:           8
        .value_kind:     global_buffer
      - .actual_access:  read_only
        .address_space:  global
        .offset:         80
        .size:           8
        .value_kind:     global_buffer
      - .actual_access:  read_only
        .address_space:  global
        .offset:         88
        .size:           8
        .value_kind:     global_buffer
      - .actual_access:  read_only
        .address_space:  global
        .offset:         96
        .size:           8
        .value_kind:     global_buffer
      - .actual_access:  write_only
        .address_space:  global
        .offset:         104
        .size:           8
        .value_kind:     global_buffer
      - .offset:         112
        .size:           4
        .value_kind:     hidden_block_count_x
      - .offset:         116
        .size:           4
        .value_kind:     hidden_block_count_y
      - .offset:         120
        .size:           4
        .value_kind:     hidden_block_count_z
      - .offset:         124
        .size:           2
        .value_kind:     hidden_group_size_x
      - .offset:         126
        .size:           2
        .value_kind:     hidden_group_size_y
      - .offset:         128
        .size:           2
        .value_kind:     hidden_group_size_z
      - .offset:         130
        .size:           2
        .value_kind:     hidden_remainder_x
      - .offset:         132
        .size:           2
        .value_kind:     hidden_remainder_y
      - .offset:         134
        .size:           2
        .value_kind:     hidden_remainder_z
      - .offset:         152
        .size:           8
        .value_kind:     hidden_global_offset_x
      - .offset:         160
        .size:           8
        .value_kind:     hidden_global_offset_y
      - .offset:         168
        .size:           8
        .value_kind:     hidden_global_offset_z
      - .offset:         176
        .size:           2
        .value_kind:     hidden_grid_dims
      - .offset:         232
        .size:           4
        .value_kind:     hidden_dynamic_lds_size
    .group_segment_fixed_size: 0
    .kernarg_segment_align: 8
    .kernarg_segment_size: 368
    .language:       OpenCL C
    .language_version:
      - 2
      - 0
    .max_flat_workgroup_size: 1024
    .name:           _Z11fasten_mainmmmmPK4AtomS1_PKfS3_S3_S3_S3_S3_PK8FFParamsPf
    .private_segment_fixed_size: 0
    .sgpr_count:     48
    .sgpr_spill_count: 0
    .symbol:         _Z11fasten_mainmmmmPK4AtomS1_PKfS3_S3_S3_S3_S3_PK8FFParamsPf.kd
    .uniform_work_group_size: 1
    .uses_dynamic_stack: false
    .vgpr_count:     48
    .vgpr_spill_count: 0
    .wavefront_size: 64
amdhsa.target:   amdgcn-amd-amdhsa--gfx906
amdhsa.version:
  - 1
  - 2
...

	.end_amdgpu_metadata
